;; amdgpu-corpus repo=zjin-lcf/HeCBench kind=compiled arch=gfx1030 opt=O3
	.amdgcn_target "amdgcn-amd-amdhsa--gfx1030"
	.amdhsa_code_object_version 6
	.text
	.protected	_Z2nePK15HIP_vector_typeIfLj3EEPS_IfLj4EEiii ; -- Begin function _Z2nePK15HIP_vector_typeIfLj3EEPS_IfLj4EEiii
	.globl	_Z2nePK15HIP_vector_typeIfLj3EEPS_IfLj4EEiii
	.p2align	8
	.type	_Z2nePK15HIP_vector_typeIfLj3EEPS_IfLj4EEiii,@function
_Z2nePK15HIP_vector_typeIfLj3EEPS_IfLj4EEiii: ; @_Z2nePK15HIP_vector_typeIfLj3EEPS_IfLj4EEiii
; %bb.0:
	s_clause 0x1
	s_load_dword s0, s[4:5], 0x2c
	s_load_dwordx4 s[8:11], s[4:5], 0x10
	s_waitcnt lgkmcnt(0)
	s_and_b32 s0, s0, 0xffff
	v_mad_u64_u32 v[7:8], null, s6, s0, v[0:1]
	s_mov_b32 s0, exec_lo
	v_cmpx_gt_i32_e64 s10, v7
	s_cbranch_execz .LBB0_36
; %bb.1:
	s_load_dwordx4 s[0:3], s[4:5], 0x0
	v_ashrrev_i32_e32 v8, 31, v7
	v_mov_b32_e32 v0, 0
	v_mov_b32_e32 v1, 0
	;; [unrolled: 1-line block ×4, first 2 shown]
	s_mov_b32 s4, exec_lo
	s_waitcnt lgkmcnt(0)
	v_mad_i64_i32 v[9:10], null, v7, 12, s[0:1]
	global_load_dwordx3 v[4:6], v[9:10], off
	s_waitcnt vmcnt(0)
	v_cmpx_o_f32_e32 v6, v6
	s_cbranch_execz .LBB0_35
; %bb.2:
	s_abs_i32 s5, s8
	v_sub_nc_u32_e32 v2, 0, v7
	v_cvt_f32_u32_e32 v0, s5
	s_sub_i32 s6, 0, s5
	s_mov_b32 s7, exec_lo
	v_max_i32_e32 v2, v7, v2
	v_rcp_iflag_f32_e32 v0, v0
	v_mul_f32_e32 v0, 0x4f7ffffe, v0
	v_cvt_u32_f32_e32 v0, v0
	v_mul_lo_u32 v1, s6, v0
	s_mov_b32 s6, 0
	v_mul_hi_u32 v1, v0, v1
	v_add_nc_u32_e32 v0, v0, v1
	v_mul_hi_u32 v0, v2, v0
	v_mul_lo_u32 v1, v0, s5
	v_sub_nc_u32_e32 v1, v2, v1
	v_add_nc_u32_e32 v2, 1, v0
	v_subrev_nc_u32_e32 v3, s5, v1
	v_cmp_le_u32_e32 vcc_lo, s5, v1
	v_cndmask_b32_e32 v0, v0, v2, vcc_lo
	v_cndmask_b32_e32 v1, v1, v3, vcc_lo
	v_xor_b32_e32 v2, s8, v7
	v_add_nc_u32_e32 v3, 1, v0
	v_cmp_le_u32_e32 vcc_lo, s5, v1
	v_ashrrev_i32_e32 v2, 31, v2
	s_mov_b32 s5, 0
	v_cndmask_b32_e32 v0, v0, v3, vcc_lo
	v_xor_b32_e32 v0, v0, v2
	v_sub_nc_u32_e32 v0, v0, v2
	v_mul_lo_u32 v1, v0, s8
	v_sub_nc_u32_e32 v1, v7, v1
	v_cmpx_lt_i32_e32 1, v1
	s_cbranch_execz .LBB0_6
; %bb.3:
	global_load_dword v2, v[9:10], off offset:-4
	s_mov_b32 s10, exec_lo
	s_waitcnt vmcnt(0)
	v_cmpx_o_f32_e32 v2, v2
; %bb.4:
	v_sub_f32_e32 v2, v2, v6
	v_cmp_gt_f32_e64 s6, 0x43480000, |v2|
	s_and_b32 s6, s6, exec_lo
; %bb.5:
	s_or_b32 exec_lo, exec_lo, s10
	s_and_b32 s6, s6, exec_lo
.LBB0_6:
	s_or_b32 exec_lo, exec_lo, s7
	s_add_i32 s7, s8, -1
	v_cmp_gt_i32_e32 vcc_lo, s7, v1
	s_and_saveexec_b32 s7, vcc_lo
	s_cbranch_execz .LBB0_10
; %bb.7:
	global_load_dword v1, v[9:10], off offset:20
	s_mov_b32 s10, exec_lo
	s_waitcnt vmcnt(0)
	v_cmpx_o_f32_e32 v1, v1
; %bb.8:
	v_sub_f32_e32 v1, v1, v6
	v_cmp_gt_f32_e64 s5, 0x43480000, |v1|
	s_and_b32 s5, s5, exec_lo
; %bb.9:
	s_or_b32 exec_lo, exec_lo, s10
	s_and_b32 s5, s5, exec_lo
.LBB0_10:
	s_or_b32 exec_lo, exec_lo, s7
	v_subrev_nc_u32_e32 v11, s8, v7
	s_mov_b32 s10, 0
	s_mov_b32 s7, 0
	s_mov_b32 s11, exec_lo
	v_cmpx_lt_i32_e32 1, v0
	s_cbranch_execz .LBB0_14
; %bb.11:
	v_mad_i64_i32 v[1:2], null, v11, 12, s[0:1]
	s_mov_b32 s12, exec_lo
	global_load_dword v1, v[1:2], off offset:8
	s_waitcnt vmcnt(0)
	v_cmpx_o_f32_e32 v1, v1
; %bb.12:
	v_sub_f32_e32 v1, v1, v6
	v_cmp_gt_f32_e64 s7, 0x43480000, |v1|
	s_and_b32 s7, s7, exec_lo
; %bb.13:
	s_or_b32 exec_lo, exec_lo, s12
	s_and_b32 s7, s7, exec_lo
.LBB0_14:
	s_or_b32 exec_lo, exec_lo, s11
	s_add_i32 s9, s9, -1
	v_cmp_gt_i32_e32 vcc_lo, s9, v0
	s_and_saveexec_b32 s9, vcc_lo
	s_cbranch_execz .LBB0_18
; %bb.15:
	v_mad_i64_i32 v[0:1], null, s8, 12, v[9:10]
	s_mov_b32 s11, exec_lo
	global_load_dword v0, v[0:1], off offset:8
	s_waitcnt vmcnt(0)
	v_cmpx_o_f32_e32 v0, v0
; %bb.16:
	v_sub_f32_e32 v0, v0, v6
	v_cmp_gt_f32_e64 s10, 0x43480000, |v0|
	s_and_b32 s10, s10, exec_lo
; %bb.17:
	s_or_b32 exec_lo, exec_lo, s11
	s_and_b32 s10, s10, exec_lo
.LBB0_18:
	s_or_b32 exec_lo, exec_lo, s9
	v_cndmask_b32_e64 v2, 0, 1, s6
	v_cndmask_b32_e64 v0, 0, 1, s5
	s_mov_b32 s9, exec_lo
                                        ; implicit-def: $vgpr13
                                        ; implicit-def: $vgpr14
                                        ; implicit-def: $vgpr12
	v_and_b32_e32 v1, v0, v2
	v_and_b32_e32 v1, 1, v1
	v_cmpx_eq_u32_e32 1, v1
	s_cbranch_execz .LBB0_20
; %bb.19:
	s_clause 0x1
	global_load_dwordx3 v[13:15], v[9:10], off offset:12
	global_load_dwordx3 v[16:18], v[9:10], off offset:-12
	s_waitcnt vmcnt(0)
	v_sub_f32_e32 v13, v13, v16
	v_sub_f32_e32 v14, v14, v17
	;; [unrolled: 1-line block ×3, first 2 shown]
.LBB0_20:
	s_or_b32 exec_lo, exec_lo, s9
	s_xor_b32 s9, s5, -1
	v_cndmask_b32_e64 v1, 0, 1, s9
	s_mov_b32 s9, exec_lo
	v_and_b32_e32 v2, v1, v2
	v_and_b32_e32 v2, 1, v2
	v_cmpx_eq_u32_e32 1, v2
	s_cbranch_execz .LBB0_22
; %bb.21:
	global_load_dwordx3 v[13:15], v[9:10], off offset:-12
	s_waitcnt vmcnt(0)
	v_sub_f32_e32 v13, v4, v13
	v_sub_f32_e32 v14, v5, v14
	;; [unrolled: 1-line block ×3, first 2 shown]
.LBB0_22:
	s_or_b32 exec_lo, exec_lo, s9
	s_xor_b32 s9, s6, -1
	v_cndmask_b32_e64 v2, 0, 1, s9
	s_mov_b32 s9, exec_lo
	v_and_b32_e32 v0, v0, v2
	v_and_b32_e32 v0, 1, v0
	v_cmpx_eq_u32_e32 1, v0
	s_cbranch_execz .LBB0_24
; %bb.23:
	global_load_dwordx3 v[13:15], v[9:10], off offset:12
	s_waitcnt vmcnt(0)
	v_sub_f32_e32 v13, v13, v4
	v_sub_f32_e32 v14, v14, v5
	;; [unrolled: 1-line block ×3, first 2 shown]
.LBB0_24:
	s_or_b32 exec_lo, exec_lo, s9
	v_and_b32_e32 v2, v1, v2
	v_mov_b32_e32 v3, 1.0
	v_mov_b32_e32 v0, 0
	v_mov_b32_e32 v1, 0
	v_cmp_eq_u32_e32 vcc_lo, 0, v2
	v_mov_b32_e32 v2, 0
	s_and_saveexec_b32 s9, vcc_lo
	s_cbranch_execz .LBB0_34
; %bb.25:
	v_cndmask_b32_e64 v2, 0, 1, s10
	v_cndmask_b32_e64 v0, 0, 1, s7
	s_mov_b32 s11, exec_lo
                                        ; implicit-def: $vgpr15
                                        ; implicit-def: $vgpr16
                                        ; implicit-def: $vgpr17
	v_and_b32_e32 v1, v2, v0
	v_and_b32_e32 v1, 1, v1
	v_cmpx_eq_u32_e32 1, v1
	s_cbranch_execz .LBB0_27
; %bb.26:
	v_mad_i64_i32 v[15:16], null, v11, 12, s[0:1]
	v_mad_i64_i32 v[20:21], null, s8, 12, v[9:10]
	s_clause 0x1
	global_load_dwordx3 v[17:19], v[15:16], off
	global_load_dwordx3 v[20:22], v[20:21], off
	s_waitcnt vmcnt(0)
	v_sub_f32_e32 v17, v17, v20
	v_sub_f32_e32 v16, v18, v21
	;; [unrolled: 1-line block ×3, first 2 shown]
.LBB0_27:
	s_or_b32 exec_lo, exec_lo, s11
	s_xor_b32 s11, s7, -1
	v_cndmask_b32_e64 v1, 0, 1, s11
	s_mov_b32 s11, exec_lo
	v_and_b32_e32 v2, v2, v1
	v_and_b32_e32 v2, 1, v2
	v_cmpx_eq_u32_e32 1, v2
	s_cbranch_execz .LBB0_29
; %bb.28:
	v_mad_i64_i32 v[2:3], null, s8, 12, v[9:10]
	global_load_dwordx3 v[17:19], v[2:3], off
	s_waitcnt vmcnt(0)
	v_sub_f32_e32 v17, v4, v17
	v_sub_f32_e32 v16, v5, v18
	;; [unrolled: 1-line block ×3, first 2 shown]
.LBB0_29:
	s_or_b32 exec_lo, exec_lo, s11
	s_xor_b32 s8, s10, -1
	s_mov_b32 s10, exec_lo
	v_cndmask_b32_e64 v2, 0, 1, s8
	v_and_b32_e32 v0, v2, v0
	v_and_b32_e32 v0, 1, v0
	v_cmpx_eq_u32_e32 1, v0
	s_cbranch_execz .LBB0_31
; %bb.30:
	v_mad_i64_i32 v[9:10], null, v11, 12, s[0:1]
	global_load_dwordx3 v[9:11], v[9:10], off
	s_waitcnt vmcnt(0)
	v_sub_f32_e32 v17, v9, v4
	v_sub_f32_e32 v16, v10, v5
	;; [unrolled: 1-line block ×3, first 2 shown]
.LBB0_31:
	s_or_b32 exec_lo, exec_lo, s10
	v_and_b32_e32 v2, v2, v1
	v_mov_b32_e32 v3, 1.0
	v_mov_b32_e32 v0, 0
	v_mov_b32_e32 v1, 0
	v_cmp_eq_u32_e32 vcc_lo, 0, v2
	v_mov_b32_e32 v2, 0
	s_and_saveexec_b32 s1, vcc_lo
	s_cbranch_execz .LBB0_33
; %bb.32:
	v_mul_f32_e32 v0, v13, v15
	v_mul_f32_e32 v1, v12, v16
	;; [unrolled: 1-line block ×3, first 2 shown]
	v_cmp_nlt_f32_e64 s0, 0x3d23d70a, |v15|
	v_fma_f32 v0, v12, v17, -v0
	v_fma_f32 v1, v14, v15, -v1
	;; [unrolled: 1-line block ×3, first 2 shown]
	s_and_b32 s0, s6, s0
	v_cmp_nlt_f32_e64 s6, 0x3d23d70a, |v12|
	v_mul_f32_e32 v3, v0, v0
	s_and_b32 s0, s5, s0
	s_and_b32 s0, s7, s0
	;; [unrolled: 1-line block ×3, first 2 shown]
	v_fmac_f32_e32 v3, v1, v1
	v_fmac_f32_e32 v3, v2, v2
	v_mul_f32_e32 v9, 0x4b800000, v3
	v_cmp_gt_f32_e32 vcc_lo, 0x800000, v3
	v_cndmask_b32_e32 v3, v3, v9, vcc_lo
	v_rsq_f32_e32 v3, v3
	v_mul_f32_e32 v9, 0x45800000, v3
	v_cndmask_b32_e32 v3, v3, v9, vcc_lo
	v_mul_f32_e32 v0, v0, v3
	v_mul_f32_e32 v9, v1, v3
	;; [unrolled: 1-line block ×3, first 2 shown]
	v_cndmask_b32_e64 v3, 0, 1.0, s8
	v_mul_f32_e32 v1, v5, v0
	v_cndmask_b32_e64 v3, 1.0, v3, s0
	v_fmac_f32_e32 v1, v4, v9
	v_fmac_f32_e32 v1, v6, v2
	v_cmp_lt_f32_e32 vcc_lo, 0, v1
	v_cndmask_b32_e64 v2, v2, -v2, vcc_lo
	v_cndmask_b32_e64 v1, v0, -v0, vcc_lo
	;; [unrolled: 1-line block ×3, first 2 shown]
.LBB0_33:
	s_or_b32 exec_lo, exec_lo, s1
.LBB0_34:
	s_or_b32 exec_lo, exec_lo, s9
.LBB0_35:
	s_or_b32 exec_lo, exec_lo, s4
	v_lshlrev_b64 v[4:5], 4, v[7:8]
	v_add_co_u32 v4, vcc_lo, s2, v4
	v_add_co_ci_u32_e64 v5, null, s3, v5, vcc_lo
	global_store_dwordx4 v[4:5], v[0:3], off
.LBB0_36:
	s_endpgm
	.section	.rodata,"a",@progbits
	.p2align	6, 0x0
	.amdhsa_kernel _Z2nePK15HIP_vector_typeIfLj3EEPS_IfLj4EEiii
		.amdhsa_group_segment_fixed_size 0
		.amdhsa_private_segment_fixed_size 0
		.amdhsa_kernarg_size 288
		.amdhsa_user_sgpr_count 6
		.amdhsa_user_sgpr_private_segment_buffer 1
		.amdhsa_user_sgpr_dispatch_ptr 0
		.amdhsa_user_sgpr_queue_ptr 0
		.amdhsa_user_sgpr_kernarg_segment_ptr 1
		.amdhsa_user_sgpr_dispatch_id 0
		.amdhsa_user_sgpr_flat_scratch_init 0
		.amdhsa_user_sgpr_private_segment_size 0
		.amdhsa_wavefront_size32 1
		.amdhsa_uses_dynamic_stack 0
		.amdhsa_system_sgpr_private_segment_wavefront_offset 0
		.amdhsa_system_sgpr_workgroup_id_x 1
		.amdhsa_system_sgpr_workgroup_id_y 0
		.amdhsa_system_sgpr_workgroup_id_z 0
		.amdhsa_system_sgpr_workgroup_info 0
		.amdhsa_system_vgpr_workitem_id 0
		.amdhsa_next_free_vgpr 23
		.amdhsa_next_free_sgpr 13
		.amdhsa_reserve_vcc 1
		.amdhsa_reserve_flat_scratch 0
		.amdhsa_float_round_mode_32 0
		.amdhsa_float_round_mode_16_64 0
		.amdhsa_float_denorm_mode_32 3
		.amdhsa_float_denorm_mode_16_64 3
		.amdhsa_dx10_clamp 1
		.amdhsa_ieee_mode 1
		.amdhsa_fp16_overflow 0
		.amdhsa_workgroup_processor_mode 1
		.amdhsa_memory_ordered 1
		.amdhsa_forward_progress 1
		.amdhsa_shared_vgpr_count 0
		.amdhsa_exception_fp_ieee_invalid_op 0
		.amdhsa_exception_fp_denorm_src 0
		.amdhsa_exception_fp_ieee_div_zero 0
		.amdhsa_exception_fp_ieee_overflow 0
		.amdhsa_exception_fp_ieee_underflow 0
		.amdhsa_exception_fp_ieee_inexact 0
		.amdhsa_exception_int_div_zero 0
	.end_amdhsa_kernel
	.text
.Lfunc_end0:
	.size	_Z2nePK15HIP_vector_typeIfLj3EEPS_IfLj4EEiii, .Lfunc_end0-_Z2nePK15HIP_vector_typeIfLj3EEPS_IfLj4EEiii
                                        ; -- End function
	.set _Z2nePK15HIP_vector_typeIfLj3EEPS_IfLj4EEiii.num_vgpr, 23
	.set _Z2nePK15HIP_vector_typeIfLj3EEPS_IfLj4EEiii.num_agpr, 0
	.set _Z2nePK15HIP_vector_typeIfLj3EEPS_IfLj4EEiii.numbered_sgpr, 13
	.set _Z2nePK15HIP_vector_typeIfLj3EEPS_IfLj4EEiii.num_named_barrier, 0
	.set _Z2nePK15HIP_vector_typeIfLj3EEPS_IfLj4EEiii.private_seg_size, 0
	.set _Z2nePK15HIP_vector_typeIfLj3EEPS_IfLj4EEiii.uses_vcc, 1
	.set _Z2nePK15HIP_vector_typeIfLj3EEPS_IfLj4EEiii.uses_flat_scratch, 0
	.set _Z2nePK15HIP_vector_typeIfLj3EEPS_IfLj4EEiii.has_dyn_sized_stack, 0
	.set _Z2nePK15HIP_vector_typeIfLj3EEPS_IfLj4EEiii.has_recursion, 0
	.set _Z2nePK15HIP_vector_typeIfLj3EEPS_IfLj4EEiii.has_indirect_call, 0
	.section	.AMDGPU.csdata,"",@progbits
; Kernel info:
; codeLenInByte = 1284
; TotalNumSgprs: 15
; NumVgprs: 23
; ScratchSize: 0
; MemoryBound: 0
; FloatMode: 240
; IeeeMode: 1
; LDSByteSize: 0 bytes/workgroup (compile time only)
; SGPRBlocks: 0
; VGPRBlocks: 2
; NumSGPRsForWavesPerEU: 15
; NumVGPRsForWavesPerEU: 23
; Occupancy: 16
; WaveLimiterHint : 0
; COMPUTE_PGM_RSRC2:SCRATCH_EN: 0
; COMPUTE_PGM_RSRC2:USER_SGPR: 6
; COMPUTE_PGM_RSRC2:TRAP_HANDLER: 0
; COMPUTE_PGM_RSRC2:TGID_X_EN: 1
; COMPUTE_PGM_RSRC2:TGID_Y_EN: 0
; COMPUTE_PGM_RSRC2:TGID_Z_EN: 0
; COMPUTE_PGM_RSRC2:TIDIG_COMP_CNT: 0
	.text
	.p2alignl 6, 3214868480
	.fill 48, 4, 3214868480
	.section	.AMDGPU.gpr_maximums,"",@progbits
	.set amdgpu.max_num_vgpr, 0
	.set amdgpu.max_num_agpr, 0
	.set amdgpu.max_num_sgpr, 0
	.text
	.type	__hip_cuid_7e5834e81b65d32e,@object ; @__hip_cuid_7e5834e81b65d32e
	.section	.bss,"aw",@nobits
	.globl	__hip_cuid_7e5834e81b65d32e
__hip_cuid_7e5834e81b65d32e:
	.byte	0                               ; 0x0
	.size	__hip_cuid_7e5834e81b65d32e, 1

	.ident	"AMD clang version 22.0.0git (https://github.com/RadeonOpenCompute/llvm-project roc-7.2.4 26084 f58b06dce1f9c15707c5f808fd002e18c2accf7e)"
	.section	".note.GNU-stack","",@progbits
	.addrsig
	.addrsig_sym __hip_cuid_7e5834e81b65d32e
	.amdgpu_metadata
---
amdhsa.kernels:
  - .args:
      - .actual_access:  read_only
        .address_space:  global
        .offset:         0
        .size:           8
        .value_kind:     global_buffer
      - .actual_access:  write_only
        .address_space:  global
        .offset:         8
        .size:           8
        .value_kind:     global_buffer
      - .offset:         16
        .size:           4
        .value_kind:     by_value
      - .offset:         20
        .size:           4
        .value_kind:     by_value
      - .offset:         24
        .size:           4
        .value_kind:     by_value
      - .offset:         32
        .size:           4
        .value_kind:     hidden_block_count_x
      - .offset:         36
        .size:           4
        .value_kind:     hidden_block_count_y
      - .offset:         40
        .size:           4
        .value_kind:     hidden_block_count_z
      - .offset:         44
        .size:           2
        .value_kind:     hidden_group_size_x
      - .offset:         46
        .size:           2
        .value_kind:     hidden_group_size_y
      - .offset:         48
        .size:           2
        .value_kind:     hidden_group_size_z
      - .offset:         50
        .size:           2
        .value_kind:     hidden_remainder_x
      - .offset:         52
        .size:           2
        .value_kind:     hidden_remainder_y
      - .offset:         54
        .size:           2
        .value_kind:     hidden_remainder_z
      - .offset:         72
        .size:           8
        .value_kind:     hidden_global_offset_x
      - .offset:         80
        .size:           8
        .value_kind:     hidden_global_offset_y
      - .offset:         88
        .size:           8
        .value_kind:     hidden_global_offset_z
      - .offset:         96
        .size:           2
        .value_kind:     hidden_grid_dims
    .group_segment_fixed_size: 0
    .kernarg_segment_align: 8
    .kernarg_segment_size: 288
    .language:       OpenCL C
    .language_version:
      - 2
      - 0
    .max_flat_workgroup_size: 1024
    .name:           _Z2nePK15HIP_vector_typeIfLj3EEPS_IfLj4EEiii
    .private_segment_fixed_size: 0
    .sgpr_count:     15
    .sgpr_spill_count: 0
    .symbol:         _Z2nePK15HIP_vector_typeIfLj3EEPS_IfLj4EEiii.kd
    .uniform_work_group_size: 1
    .uses_dynamic_stack: false
    .vgpr_count:     23
    .vgpr_spill_count: 0
    .wavefront_size: 32
    .workgroup_processor_mode: 1
amdhsa.target:   amdgcn-amd-amdhsa--gfx1030
amdhsa.version:
  - 1
  - 2
...

	.end_amdgpu_metadata
